;; amdgpu-corpus repo=ROCm/rocFFT kind=compiled arch=gfx906 opt=O3
	.text
	.amdgcn_target "amdgcn-amd-amdhsa--gfx906"
	.amdhsa_code_object_version 6
	.protected	fft_rtc_fwd_len528_factors_4_4_3_11_wgs_48_tpt_48_halfLds_dp_ip_CI_unitstride_sbrr_R2C_dirReg ; -- Begin function fft_rtc_fwd_len528_factors_4_4_3_11_wgs_48_tpt_48_halfLds_dp_ip_CI_unitstride_sbrr_R2C_dirReg
	.globl	fft_rtc_fwd_len528_factors_4_4_3_11_wgs_48_tpt_48_halfLds_dp_ip_CI_unitstride_sbrr_R2C_dirReg
	.p2align	8
	.type	fft_rtc_fwd_len528_factors_4_4_3_11_wgs_48_tpt_48_halfLds_dp_ip_CI_unitstride_sbrr_R2C_dirReg,@function
fft_rtc_fwd_len528_factors_4_4_3_11_wgs_48_tpt_48_halfLds_dp_ip_CI_unitstride_sbrr_R2C_dirReg: ; @fft_rtc_fwd_len528_factors_4_4_3_11_wgs_48_tpt_48_halfLds_dp_ip_CI_unitstride_sbrr_R2C_dirReg
; %bb.0:
	s_load_dwordx2 s[2:3], s[4:5], 0x50
	s_load_dwordx4 s[8:11], s[4:5], 0x0
	s_load_dwordx2 s[12:13], s[4:5], 0x18
	v_mul_u32_u24_e32 v1, 0x556, v0
	v_add_u32_sdwa v5, s6, v1 dst_sel:DWORD dst_unused:UNUSED_PAD src0_sel:DWORD src1_sel:WORD_1
	v_mov_b32_e32 v3, 0
	s_waitcnt lgkmcnt(0)
	v_cmp_lt_u64_e64 s[0:1], s[10:11], 2
	v_mov_b32_e32 v1, 0
	v_mov_b32_e32 v6, v3
	s_and_b64 vcc, exec, s[0:1]
	v_mov_b32_e32 v2, 0
	s_cbranch_vccnz .LBB0_8
; %bb.1:
	s_load_dwordx2 s[0:1], s[4:5], 0x10
	s_add_u32 s6, s12, 8
	s_addc_u32 s7, s13, 0
	v_mov_b32_e32 v1, 0
	v_mov_b32_e32 v2, 0
	s_waitcnt lgkmcnt(0)
	s_add_u32 s14, s0, 8
	s_addc_u32 s15, s1, 0
	s_mov_b64 s[16:17], 1
.LBB0_2:                                ; =>This Inner Loop Header: Depth=1
	s_load_dwordx2 s[18:19], s[14:15], 0x0
                                        ; implicit-def: $vgpr7_vgpr8
	s_waitcnt lgkmcnt(0)
	v_or_b32_e32 v4, s19, v6
	v_cmp_ne_u64_e32 vcc, 0, v[3:4]
	s_and_saveexec_b64 s[0:1], vcc
	s_xor_b64 s[20:21], exec, s[0:1]
	s_cbranch_execz .LBB0_4
; %bb.3:                                ;   in Loop: Header=BB0_2 Depth=1
	v_cvt_f32_u32_e32 v4, s18
	v_cvt_f32_u32_e32 v7, s19
	s_sub_u32 s0, 0, s18
	s_subb_u32 s1, 0, s19
	v_mac_f32_e32 v4, 0x4f800000, v7
	v_rcp_f32_e32 v4, v4
	v_mul_f32_e32 v4, 0x5f7ffffc, v4
	v_mul_f32_e32 v7, 0x2f800000, v4
	v_trunc_f32_e32 v7, v7
	v_mac_f32_e32 v4, 0xcf800000, v7
	v_cvt_u32_f32_e32 v7, v7
	v_cvt_u32_f32_e32 v4, v4
	v_mul_lo_u32 v8, s0, v7
	v_mul_hi_u32 v9, s0, v4
	v_mul_lo_u32 v11, s1, v4
	v_mul_lo_u32 v10, s0, v4
	v_add_u32_e32 v8, v9, v8
	v_add_u32_e32 v8, v8, v11
	v_mul_hi_u32 v9, v4, v10
	v_mul_lo_u32 v11, v4, v8
	v_mul_hi_u32 v13, v4, v8
	v_mul_hi_u32 v12, v7, v10
	v_mul_lo_u32 v10, v7, v10
	v_mul_hi_u32 v14, v7, v8
	v_add_co_u32_e32 v9, vcc, v9, v11
	v_addc_co_u32_e32 v11, vcc, 0, v13, vcc
	v_mul_lo_u32 v8, v7, v8
	v_add_co_u32_e32 v9, vcc, v9, v10
	v_addc_co_u32_e32 v9, vcc, v11, v12, vcc
	v_addc_co_u32_e32 v10, vcc, 0, v14, vcc
	v_add_co_u32_e32 v8, vcc, v9, v8
	v_addc_co_u32_e32 v9, vcc, 0, v10, vcc
	v_add_co_u32_e32 v4, vcc, v4, v8
	v_addc_co_u32_e32 v7, vcc, v7, v9, vcc
	v_mul_lo_u32 v8, s0, v7
	v_mul_hi_u32 v9, s0, v4
	v_mul_lo_u32 v10, s1, v4
	v_mul_lo_u32 v11, s0, v4
	v_add_u32_e32 v8, v9, v8
	v_add_u32_e32 v8, v8, v10
	v_mul_lo_u32 v12, v4, v8
	v_mul_hi_u32 v13, v4, v11
	v_mul_hi_u32 v14, v4, v8
	;; [unrolled: 1-line block ×3, first 2 shown]
	v_mul_lo_u32 v11, v7, v11
	v_mul_hi_u32 v9, v7, v8
	v_add_co_u32_e32 v12, vcc, v13, v12
	v_addc_co_u32_e32 v13, vcc, 0, v14, vcc
	v_mul_lo_u32 v8, v7, v8
	v_add_co_u32_e32 v11, vcc, v12, v11
	v_addc_co_u32_e32 v10, vcc, v13, v10, vcc
	v_addc_co_u32_e32 v9, vcc, 0, v9, vcc
	v_add_co_u32_e32 v8, vcc, v10, v8
	v_addc_co_u32_e32 v9, vcc, 0, v9, vcc
	v_add_co_u32_e32 v4, vcc, v4, v8
	v_addc_co_u32_e32 v9, vcc, v7, v9, vcc
	v_mad_u64_u32 v[7:8], s[0:1], v5, v9, 0
	v_mul_hi_u32 v10, v5, v4
	v_add_co_u32_e32 v11, vcc, v10, v7
	v_addc_co_u32_e32 v12, vcc, 0, v8, vcc
	v_mad_u64_u32 v[7:8], s[0:1], v6, v4, 0
	v_mad_u64_u32 v[9:10], s[0:1], v6, v9, 0
	v_add_co_u32_e32 v4, vcc, v11, v7
	v_addc_co_u32_e32 v4, vcc, v12, v8, vcc
	v_addc_co_u32_e32 v7, vcc, 0, v10, vcc
	v_add_co_u32_e32 v4, vcc, v4, v9
	v_addc_co_u32_e32 v9, vcc, 0, v7, vcc
	v_mul_lo_u32 v10, s19, v4
	v_mul_lo_u32 v11, s18, v9
	v_mad_u64_u32 v[7:8], s[0:1], s18, v4, 0
	v_add3_u32 v8, v8, v11, v10
	v_sub_u32_e32 v10, v6, v8
	v_mov_b32_e32 v11, s19
	v_sub_co_u32_e32 v7, vcc, v5, v7
	v_subb_co_u32_e64 v10, s[0:1], v10, v11, vcc
	v_subrev_co_u32_e64 v11, s[0:1], s18, v7
	v_subbrev_co_u32_e64 v10, s[0:1], 0, v10, s[0:1]
	v_cmp_le_u32_e64 s[0:1], s19, v10
	v_cndmask_b32_e64 v12, 0, -1, s[0:1]
	v_cmp_le_u32_e64 s[0:1], s18, v11
	v_cndmask_b32_e64 v11, 0, -1, s[0:1]
	v_cmp_eq_u32_e64 s[0:1], s19, v10
	v_cndmask_b32_e64 v10, v12, v11, s[0:1]
	v_add_co_u32_e64 v11, s[0:1], 2, v4
	v_addc_co_u32_e64 v12, s[0:1], 0, v9, s[0:1]
	v_add_co_u32_e64 v13, s[0:1], 1, v4
	v_addc_co_u32_e64 v14, s[0:1], 0, v9, s[0:1]
	v_subb_co_u32_e32 v8, vcc, v6, v8, vcc
	v_cmp_ne_u32_e64 s[0:1], 0, v10
	v_cmp_le_u32_e32 vcc, s19, v8
	v_cndmask_b32_e64 v10, v14, v12, s[0:1]
	v_cndmask_b32_e64 v12, 0, -1, vcc
	v_cmp_le_u32_e32 vcc, s18, v7
	v_cndmask_b32_e64 v7, 0, -1, vcc
	v_cmp_eq_u32_e32 vcc, s19, v8
	v_cndmask_b32_e32 v7, v12, v7, vcc
	v_cmp_ne_u32_e32 vcc, 0, v7
	v_cndmask_b32_e64 v7, v13, v11, s[0:1]
	v_cndmask_b32_e32 v8, v9, v10, vcc
	v_cndmask_b32_e32 v7, v4, v7, vcc
.LBB0_4:                                ;   in Loop: Header=BB0_2 Depth=1
	s_andn2_saveexec_b64 s[0:1], s[20:21]
	s_cbranch_execz .LBB0_6
; %bb.5:                                ;   in Loop: Header=BB0_2 Depth=1
	v_cvt_f32_u32_e32 v4, s18
	s_sub_i32 s20, 0, s18
	v_rcp_iflag_f32_e32 v4, v4
	v_mul_f32_e32 v4, 0x4f7ffffe, v4
	v_cvt_u32_f32_e32 v4, v4
	v_mul_lo_u32 v7, s20, v4
	v_mul_hi_u32 v7, v4, v7
	v_add_u32_e32 v4, v4, v7
	v_mul_hi_u32 v4, v5, v4
	v_mul_lo_u32 v7, v4, s18
	v_add_u32_e32 v8, 1, v4
	v_sub_u32_e32 v7, v5, v7
	v_subrev_u32_e32 v9, s18, v7
	v_cmp_le_u32_e32 vcc, s18, v7
	v_cndmask_b32_e32 v7, v7, v9, vcc
	v_cndmask_b32_e32 v4, v4, v8, vcc
	v_add_u32_e32 v8, 1, v4
	v_cmp_le_u32_e32 vcc, s18, v7
	v_cndmask_b32_e32 v7, v4, v8, vcc
	v_mov_b32_e32 v8, v3
.LBB0_6:                                ;   in Loop: Header=BB0_2 Depth=1
	s_or_b64 exec, exec, s[0:1]
	v_mul_lo_u32 v4, v8, s18
	v_mul_lo_u32 v11, v7, s19
	v_mad_u64_u32 v[9:10], s[0:1], v7, s18, 0
	s_load_dwordx2 s[0:1], s[6:7], 0x0
	s_add_u32 s16, s16, 1
	v_add3_u32 v4, v10, v11, v4
	v_sub_co_u32_e32 v5, vcc, v5, v9
	v_subb_co_u32_e32 v4, vcc, v6, v4, vcc
	s_waitcnt lgkmcnt(0)
	v_mul_lo_u32 v4, s0, v4
	v_mul_lo_u32 v6, s1, v5
	v_mad_u64_u32 v[1:2], s[0:1], s0, v5, v[1:2]
	s_addc_u32 s17, s17, 0
	s_add_u32 s6, s6, 8
	v_add3_u32 v2, v6, v2, v4
	v_mov_b32_e32 v4, s10
	v_mov_b32_e32 v5, s11
	s_addc_u32 s7, s7, 0
	v_cmp_ge_u64_e32 vcc, s[16:17], v[4:5]
	s_add_u32 s14, s14, 8
	s_addc_u32 s15, s15, 0
	s_cbranch_vccnz .LBB0_9
; %bb.7:                                ;   in Loop: Header=BB0_2 Depth=1
	v_mov_b32_e32 v5, v7
	v_mov_b32_e32 v6, v8
	s_branch .LBB0_2
.LBB0_8:
	v_mov_b32_e32 v8, v6
	v_mov_b32_e32 v7, v5
.LBB0_9:
	s_lshl_b64 s[0:1], s[10:11], 3
	s_add_u32 s0, s12, s0
	s_addc_u32 s1, s13, s1
	s_load_dwordx2 s[6:7], s[0:1], 0x0
	s_load_dwordx2 s[10:11], s[4:5], 0x20
                                        ; implicit-def: $vgpr62
	s_waitcnt lgkmcnt(0)
	v_mad_u64_u32 v[1:2], s[0:1], s6, v7, v[1:2]
	s_mov_b32 s0, 0x5555556
	v_mul_lo_u32 v3, s6, v8
	v_mul_lo_u32 v4, s7, v7
	v_mul_hi_u32 v5, v0, s0
	v_cmp_gt_u64_e32 vcc, s[10:11], v[7:8]
	v_cmp_le_u64_e64 s[0:1], s[10:11], v[7:8]
	v_add3_u32 v2, v4, v2, v3
	v_mul_u32_u24_e32 v3, 48, v5
	v_sub_u32_e32 v56, v0, v3
	v_add_u32_e32 v60, 48, v56
	s_and_saveexec_b64 s[4:5], s[0:1]
	s_xor_b64 s[0:1], exec, s[4:5]
; %bb.10:
	v_add_u32_e32 v60, 48, v56
	v_add_u32_e32 v62, 0x60, v56
; %bb.11:
	s_or_saveexec_b64 s[4:5], s[0:1]
	v_lshlrev_b64 v[58:59], 4, v[1:2]
	v_lshl_add_u32 v64, v56, 4, 0
	s_xor_b64 exec, exec, s[4:5]
	s_cbranch_execz .LBB0_13
; %bb.12:
	v_mov_b32_e32 v57, 0
	v_mov_b32_e32 v0, s3
	v_add_co_u32_e64 v34, s[0:1], s2, v58
	v_addc_co_u32_e64 v35, s[0:1], v0, v59, s[0:1]
	v_lshlrev_b64 v[0:1], 4, v[56:57]
	v_or_b32_e32 v32, 0x180, v56
	v_add_co_u32_e64 v24, s[0:1], v34, v0
	v_addc_co_u32_e64 v25, s[0:1], v35, v1, s[0:1]
	s_movk_i32 s0, 0x1000
	v_mov_b32_e32 v33, v57
	v_add_co_u32_e64 v44, s[0:1], s0, v24
	v_lshlrev_b64 v[32:33], 4, v[32:33]
	v_addc_co_u32_e64 v45, s[0:1], 0, v25, s[0:1]
	v_add_co_u32_e64 v46, s[0:1], v34, v32
	v_addc_co_u32_e64 v47, s[0:1], v35, v33, s[0:1]
	global_load_dwordx4 v[0:3], v[24:25], off
	global_load_dwordx4 v[4:7], v[24:25], off offset:768
	global_load_dwordx4 v[8:11], v[24:25], off offset:1536
	;; [unrolled: 1-line block ×5, first 2 shown]
	s_nop 0
	global_load_dwordx4 v[24:27], v[44:45], off offset:512
	global_load_dwordx4 v[28:31], v[44:45], off offset:1280
	global_load_dwordx4 v[32:35], v[46:47], off
	global_load_dwordx4 v[36:39], v[44:45], off offset:2816
	global_load_dwordx4 v[40:43], v[44:45], off offset:3584
	v_add_u32_e32 v62, 0x60, v56
	s_waitcnt vmcnt(10)
	ds_write_b128 v64, v[0:3]
	s_waitcnt vmcnt(9)
	ds_write_b128 v64, v[4:7] offset:768
	s_waitcnt vmcnt(8)
	ds_write_b128 v64, v[8:11] offset:1536
	;; [unrolled: 2-line block ×10, first 2 shown]
.LBB0_13:
	s_or_b64 exec, exec, s[4:5]
	s_waitcnt lgkmcnt(0)
	; wave barrier
	s_waitcnt lgkmcnt(0)
	ds_read_b128 v[0:3], v64 offset:6336
	ds_read_b128 v[4:7], v64 offset:2112
	;; [unrolled: 1-line block ×5, first 2 shown]
	ds_read_b128 v[20:23], v64
	s_waitcnt lgkmcnt(4)
	v_add_f64 v[28:29], v[4:5], -v[0:1]
	v_add_f64 v[30:31], v[6:7], -v[2:3]
	ds_read_b128 v[0:3], v64 offset:768
	ds_read_b128 v[24:27], v64 offset:4992
	v_mad_u32_u24 v50, v56, 48, v64
	s_waitcnt lgkmcnt(2)
	v_add_f64 v[32:33], v[20:21], -v[16:17]
	v_add_f64 v[34:35], v[22:23], -v[18:19]
	v_lshl_add_u32 v52, v60, 6, 0
	v_cmp_gt_u32_e64 s[0:1], 36, v56
	v_fma_f64 v[36:37], v[4:5], 2.0, -v[28:29]
	v_fma_f64 v[46:47], v[6:7], 2.0, -v[30:31]
	v_add_f64 v[16:17], v[32:33], -v[30:31]
	v_add_f64 v[18:19], v[34:35], v[28:29]
	v_fma_f64 v[44:45], v[20:21], 2.0, -v[32:33]
	v_fma_f64 v[48:49], v[22:23], 2.0, -v[34:35]
	ds_read_b128 v[20:23], v64 offset:2880
	ds_read_b128 v[28:31], v64 offset:3648
	v_fma_f64 v[4:5], v[32:33], 2.0, -v[16:17]
	v_fma_f64 v[6:7], v[34:35], 2.0, -v[18:19]
	v_add_f64 v[32:33], v[44:45], -v[36:37]
	ds_read_b128 v[36:39], v64 offset:7104
	ds_read_b128 v[40:43], v64 offset:7872
	s_waitcnt lgkmcnt(0)
	; wave barrier
	s_waitcnt lgkmcnt(0)
	ds_write_b128 v50, v[4:7] offset:16
	ds_write_b128 v50, v[16:19] offset:48
	v_add_f64 v[34:35], v[48:49], -v[46:47]
	v_fma_f64 v[16:17], v[44:45], 2.0, -v[32:33]
	v_add_f64 v[44:45], v[0:1], -v[24:25]
	v_add_f64 v[46:47], v[2:3], -v[26:27]
	;; [unrolled: 1-line block ×8, first 2 shown]
	v_fma_f64 v[0:1], v[0:1], 2.0, -v[44:45]
	v_fma_f64 v[2:3], v[2:3], 2.0, -v[46:47]
	;; [unrolled: 1-line block ×8, first 2 shown]
	v_add_f64 v[24:25], v[44:45], -v[6:7]
	v_add_f64 v[26:27], v[46:47], v[4:5]
	v_add_f64 v[20:21], v[0:1], -v[20:21]
	v_add_f64 v[22:23], v[2:3], -v[22:23]
	;; [unrolled: 1-line block ×3, first 2 shown]
	v_add_f64 v[14:15], v[38:39], v[14:15]
	v_add_f64 v[4:5], v[8:9], -v[28:29]
	v_add_f64 v[6:7], v[10:11], -v[30:31]
	v_fma_f64 v[18:19], v[48:49], 2.0, -v[34:35]
	ds_write_b128 v50, v[32:35] offset:32
	v_fma_f64 v[28:29], v[0:1], 2.0, -v[20:21]
	v_fma_f64 v[30:31], v[2:3], 2.0, -v[22:23]
	;; [unrolled: 1-line block ×8, first 2 shown]
	ds_write_b128 v50, v[16:19]
	ds_write_b128 v52, v[28:31]
	ds_write_b128 v52, v[32:35] offset:16
	ds_write_b128 v52, v[20:23] offset:32
	;; [unrolled: 1-line block ×3, first 2 shown]
	s_and_saveexec_b64 s[4:5], s[0:1]
	s_cbranch_execz .LBB0_15
; %bb.14:
	v_lshl_add_u32 v16, v62, 6, 0
	ds_write_b128 v16, v[0:3]
	ds_write_b128 v16, v[8:11] offset:16
	ds_write_b128 v16, v[4:7] offset:32
	;; [unrolled: 1-line block ×3, first 2 shown]
.LBB0_15:
	s_or_b64 exec, exec, s[4:5]
	s_movk_i32 s4, 0xffd0
	v_mad_i32_i24 v16, v60, s4, v52
	s_waitcnt lgkmcnt(0)
	; wave barrier
	s_waitcnt lgkmcnt(0)
	ds_read_b128 v[20:23], v64
	ds_read_b128 v[16:19], v16
	ds_read_b128 v[44:47], v64 offset:2112
	ds_read_b128 v[40:43], v64 offset:2880
	;; [unrolled: 1-line block ×6, first 2 shown]
	v_lshlrev_b32_e32 v48, 2, v60
	v_lshl_add_u32 v65, v62, 4, 0
	s_and_saveexec_b64 s[4:5], s[0:1]
	s_cbranch_execz .LBB0_17
; %bb.16:
	ds_read_b128 v[0:3], v65
	ds_read_b128 v[8:11], v64 offset:3648
	ds_read_b128 v[4:7], v64 offset:5760
	;; [unrolled: 1-line block ×3, first 2 shown]
.LBB0_17:
	s_or_b64 exec, exec, s[4:5]
	v_and_b32_e32 v49, 3, v56
	v_mul_u32_u24_e32 v50, 3, v49
	v_lshlrev_b32_e32 v50, 4, v50
	global_load_dwordx4 v[66:69], v50, s[8:9]
	global_load_dwordx4 v[70:73], v50, s[8:9] offset:16
	global_load_dwordx4 v[74:77], v50, s[8:9] offset:32
	v_lshlrev_b32_e32 v50, 2, v56
	s_movk_i32 s4, 0xf0
	v_and_or_b32 v50, v50, s4, v49
	v_lshl_add_u32 v57, v50, 4, 0
	s_movk_i32 s5, 0x1f0
	v_mul_i32_i24_e32 v53, 0xffffffd0, v60
	v_and_or_b32 v48, v48, s5, v49
	v_lshl_add_u32 v48, v48, 4, 0
	s_waitcnt lgkmcnt(0)
	; wave barrier
	s_waitcnt vmcnt(2) lgkmcnt(0)
	v_mul_f64 v[50:51], v[46:47], v[68:69]
	v_mul_f64 v[54:55], v[44:45], v[68:69]
	s_waitcnt vmcnt(1)
	v_mul_f64 v[84:85], v[38:39], v[72:73]
	v_mul_f64 v[86:87], v[36:37], v[72:73]
	s_waitcnt vmcnt(0)
	v_mul_f64 v[94:95], v[30:31], v[76:77]
	v_mul_f64 v[96:97], v[28:29], v[76:77]
	;; [unrolled: 1-line block ×14, first 2 shown]
	v_fma_f64 v[44:45], v[44:45], v[66:67], -v[50:51]
	v_fma_f64 v[46:47], v[46:47], v[66:67], v[54:55]
	v_fma_f64 v[36:37], v[36:37], v[70:71], -v[84:85]
	v_fma_f64 v[38:39], v[38:39], v[70:71], v[86:87]
	;; [unrolled: 2-line block ×9, first 2 shown]
	v_add_f64 v[36:37], v[20:21], -v[36:37]
	v_add_f64 v[38:39], v[22:23], -v[38:39]
	;; [unrolled: 1-line block ×12, first 2 shown]
	v_fma_f64 v[70:71], v[20:21], 2.0, -v[36:37]
	v_fma_f64 v[72:73], v[22:23], 2.0, -v[38:39]
	v_fma_f64 v[32:33], v[44:45], 2.0, -v[28:29]
	v_fma_f64 v[34:35], v[46:47], 2.0, -v[30:31]
	v_add_f64 v[20:21], v[36:37], -v[30:31]
	v_fma_f64 v[44:45], v[16:17], 2.0, -v[50:51]
	v_fma_f64 v[46:47], v[18:19], 2.0, -v[54:55]
	;; [unrolled: 1-line block ×8, first 2 shown]
	v_add_f64 v[4:5], v[66:67], -v[4:5]
	v_add_f64 v[6:7], v[68:69], v[6:7]
	v_add_f64 v[22:23], v[38:39], v[28:29]
	v_add_f64 v[16:17], v[50:51], -v[26:27]
	v_add_f64 v[18:19], v[54:55], v[24:25]
	v_add_f64 v[24:25], v[70:71], -v[32:33]
	v_add_f64 v[26:27], v[72:73], -v[34:35]
	;; [unrolled: 1-line block ×6, first 2 shown]
	v_fma_f64 v[0:1], v[66:67], 2.0, -v[4:5]
	v_fma_f64 v[2:3], v[68:69], 2.0, -v[6:7]
	;; [unrolled: 1-line block ×10, first 2 shown]
	ds_write_b128 v57, v[20:23] offset:192
	ds_write_b128 v57, v[28:31] offset:64
	;; [unrolled: 1-line block ×3, first 2 shown]
	ds_write_b128 v57, v[40:43]
	ds_write_b128 v48, v[44:47]
	ds_write_b128 v48, v[36:39] offset:64
	ds_write_b128 v48, v[32:35] offset:128
	;; [unrolled: 1-line block ×3, first 2 shown]
	s_and_saveexec_b64 s[4:5], s[0:1]
	s_cbranch_execz .LBB0_19
; %bb.18:
	v_fma_f64 v[14:15], v[14:15], 2.0, -v[10:11]
	v_fma_f64 v[12:13], v[12:13], 2.0, -v[8:9]
	v_lshlrev_b32_e32 v16, 2, v62
	s_movk_i32 s0, 0x3f0
	v_and_or_b32 v16, v16, s0, v49
	v_lshl_add_u32 v16, v16, 4, 0
	ds_write_b128 v16, v[0:3] offset:64
	ds_write_b128 v16, v[8:11] offset:128
	ds_write_b128 v16, v[12:15]
	ds_write_b128 v16, v[4:7] offset:192
.LBB0_19:
	s_or_b64 exec, exec, s[4:5]
	s_waitcnt lgkmcnt(0)
	; wave barrier
	s_waitcnt lgkmcnt(0)
	ds_read_b128 v[28:31], v64
	ds_read_b128 v[48:51], v64 offset:2816
	v_add_u32_e32 v66, v52, v53
	ds_read_b128 v[44:47], v64 offset:5632
	ds_read_b128 v[36:39], v64 offset:6400
	ds_read_b128 v[24:27], v66
	ds_read_b128 v[20:23], v65
	ds_read_b128 v[52:55], v64 offset:3584
	ds_read_b128 v[40:43], v64 offset:4352
	;; [unrolled: 1-line block ×3, first 2 shown]
	v_cmp_gt_u32_e64 s[0:1], 32, v56
	s_and_saveexec_b64 s[4:5], s[0:1]
	s_cbranch_execz .LBB0_21
; %bb.20:
	ds_read_b128 v[0:3], v64 offset:2304
	ds_read_b128 v[8:11], v64 offset:5120
	;; [unrolled: 1-line block ×3, first 2 shown]
.LBB0_21:
	s_or_b64 exec, exec, s[4:5]
	v_and_b32_e32 v57, 15, v56
	v_lshlrev_b32_e32 v61, 5, v57
	global_load_dwordx4 v[12:15], v61, s[8:9] offset:208
	global_load_dwordx4 v[16:19], v61, s[8:9] offset:192
	s_mov_b32 s4, 0xe8584caa
	s_mov_b32 s5, 0x3febb67a
	;; [unrolled: 1-line block ×4, first 2 shown]
	v_lshrrev_b32_e32 v61, 4, v56
	v_mul_u32_u24_e32 v61, 48, v61
	v_or_b32_e32 v61, v61, v57
	v_lshl_add_u32 v61, v61, 4, 0
	s_waitcnt lgkmcnt(0)
	; wave barrier
	s_waitcnt vmcnt(0) lgkmcnt(0)
	v_mul_f64 v[67:68], v[50:51], v[18:19]
	v_fma_f64 v[67:68], v[48:49], v[16:17], -v[67:68]
	v_mul_f64 v[48:49], v[48:49], v[18:19]
	v_fma_f64 v[48:49], v[50:51], v[16:17], v[48:49]
	v_mul_f64 v[50:51], v[46:47], v[14:15]
	v_fma_f64 v[50:51], v[44:45], v[12:13], -v[50:51]
	v_mul_f64 v[44:45], v[44:45], v[14:15]
	v_fma_f64 v[44:45], v[46:47], v[12:13], v[44:45]
	v_mul_f64 v[46:47], v[54:55], v[18:19]
	v_fma_f64 v[46:47], v[52:53], v[16:17], -v[46:47]
	v_mul_f64 v[52:53], v[52:53], v[18:19]
	v_fma_f64 v[52:53], v[54:55], v[16:17], v[52:53]
	v_mul_f64 v[54:55], v[38:39], v[14:15]
	v_fma_f64 v[54:55], v[36:37], v[12:13], -v[54:55]
	v_mul_f64 v[36:37], v[36:37], v[14:15]
	v_fma_f64 v[69:70], v[38:39], v[12:13], v[36:37]
	v_mul_f64 v[36:37], v[42:43], v[18:19]
	v_add_f64 v[38:39], v[48:49], v[44:45]
	v_fma_f64 v[71:72], v[40:41], v[16:17], -v[36:37]
	v_mul_f64 v[36:37], v[40:41], v[18:19]
	v_fma_f64 v[38:39], v[38:39], -0.5, v[30:31]
	v_add_f64 v[40:41], v[67:68], -v[50:51]
	v_fma_f64 v[73:74], v[42:43], v[16:17], v[36:37]
	v_mul_f64 v[36:37], v[34:35], v[14:15]
	v_add_f64 v[42:43], v[46:47], v[54:55]
	v_fma_f64 v[75:76], v[32:33], v[12:13], -v[36:37]
	v_mul_f64 v[32:33], v[32:33], v[14:15]
	v_add_f64 v[36:37], v[48:49], -v[44:45]
	v_fma_f64 v[42:43], v[42:43], -0.5, v[24:25]
	v_fma_f64 v[77:78], v[34:35], v[12:13], v[32:33]
	v_add_f64 v[34:35], v[67:68], v[50:51]
	v_add_f64 v[32:33], v[28:29], v[67:68]
	v_add_f64 v[67:68], v[71:72], -v[75:76]
	v_fma_f64 v[34:35], v[34:35], -0.5, v[28:29]
	v_add_f64 v[32:33], v[32:33], v[50:51]
	v_add_f64 v[50:51], v[71:72], v[75:76]
	v_fma_f64 v[28:29], v[36:37], s[4:5], v[34:35]
	v_fma_f64 v[36:37], v[36:37], s[6:7], v[34:35]
	v_add_f64 v[34:35], v[30:31], v[48:49]
	v_add_f64 v[48:49], v[52:53], v[69:70]
	v_fma_f64 v[30:31], v[40:41], s[6:7], v[38:39]
	v_fma_f64 v[38:39], v[40:41], s[4:5], v[38:39]
	v_add_f64 v[40:41], v[24:25], v[46:47]
	v_add_f64 v[46:47], v[46:47], -v[54:55]
	v_fma_f64 v[50:51], v[50:51], -0.5, v[20:21]
	v_add_f64 v[34:35], v[34:35], v[44:45]
	v_add_f64 v[44:45], v[52:53], -v[69:70]
	v_fma_f64 v[48:49], v[48:49], -0.5, v[26:27]
	ds_write_b128 v61, v[32:35]
	ds_write_b128 v61, v[28:31] offset:256
	ds_write_b128 v61, v[36:39] offset:512
	v_fma_f64 v[24:25], v[44:45], s[4:5], v[42:43]
	v_fma_f64 v[44:45], v[44:45], s[6:7], v[42:43]
	v_add_f64 v[42:43], v[26:27], v[52:53]
	v_add_f64 v[52:53], v[73:74], -v[77:78]
	v_add_f64 v[40:41], v[40:41], v[54:55]
	v_add_f64 v[54:55], v[73:74], v[77:78]
	v_fma_f64 v[26:27], v[46:47], s[6:7], v[48:49]
	v_fma_f64 v[46:47], v[46:47], s[4:5], v[48:49]
	v_add_f64 v[48:49], v[20:21], v[71:72]
	v_lshrrev_b32_e32 v28, 4, v60
	v_add_f64 v[42:43], v[42:43], v[69:70]
	v_fma_f64 v[20:21], v[52:53], s[4:5], v[50:51]
	v_fma_f64 v[52:53], v[52:53], s[6:7], v[50:51]
	v_add_f64 v[50:51], v[22:23], v[73:74]
	v_fma_f64 v[54:55], v[54:55], -0.5, v[22:23]
	v_mul_lo_u32 v28, v28, 48
	v_add_f64 v[48:49], v[48:49], v[75:76]
	v_or_b32_e32 v28, v28, v57
	v_lshl_add_u32 v28, v28, 4, 0
	v_add_f64 v[50:51], v[50:51], v[77:78]
	v_fma_f64 v[22:23], v[67:68], s[6:7], v[54:55]
	ds_write_b128 v28, v[40:43]
	ds_write_b128 v28, v[24:27] offset:256
	ds_write_b128 v28, v[44:47] offset:512
	v_lshrrev_b32_e32 v24, 4, v62
	v_fma_f64 v[54:55], v[67:68], s[4:5], v[54:55]
	v_mul_lo_u32 v24, v24, 48
	v_or_b32_e32 v24, v24, v57
	v_lshl_add_u32 v24, v24, 4, 0
	ds_write_b128 v24, v[48:51]
	ds_write_b128 v24, v[20:23] offset:256
	ds_write_b128 v24, v[52:55] offset:512
	s_and_saveexec_b64 s[10:11], s[0:1]
	s_cbranch_execz .LBB0_23
; %bb.22:
	v_mul_f64 v[20:21], v[8:9], v[18:19]
	v_mul_f64 v[22:23], v[4:5], v[14:15]
	;; [unrolled: 1-line block ×4, first 2 shown]
	v_fma_f64 v[10:11], v[10:11], v[16:17], v[20:21]
	v_fma_f64 v[6:7], v[6:7], v[12:13], v[22:23]
	v_fma_f64 v[8:9], v[8:9], v[16:17], -v[18:19]
	v_fma_f64 v[4:5], v[4:5], v[12:13], -v[14:15]
	v_add_f64 v[18:19], v[2:3], v[10:11]
	v_add_f64 v[12:13], v[10:11], v[6:7]
	v_add_f64 v[20:21], v[10:11], -v[6:7]
	v_add_f64 v[14:15], v[8:9], v[4:5]
	v_add_f64 v[16:17], v[8:9], -v[4:5]
	v_add_f64 v[8:9], v[0:1], v[8:9]
	v_fma_f64 v[12:13], v[12:13], -0.5, v[2:3]
	v_add_f64 v[2:3], v[18:19], v[6:7]
	v_fma_f64 v[14:15], v[14:15], -0.5, v[0:1]
	v_add_f64 v[0:1], v[8:9], v[4:5]
	v_fma_f64 v[10:11], v[16:17], s[6:7], v[12:13]
	v_fma_f64 v[6:7], v[16:17], s[4:5], v[12:13]
	;; [unrolled: 1-line block ×4, first 2 shown]
	v_add_u32_e32 v12, 0x90, v56
	v_lshrrev_b32_e32 v12, 4, v12
	v_mul_u32_u24_e32 v12, 48, v12
	v_or_b32_e32 v12, v12, v57
	v_lshl_add_u32 v12, v12, 4, 0
	ds_write_b128 v12, v[0:3]
	ds_write_b128 v12, v[8:11] offset:256
	ds_write_b128 v12, v[4:7] offset:512
.LBB0_23:
	s_or_b64 exec, exec, s[10:11]
	v_mul_u32_u24_e32 v0, 10, v56
	v_lshlrev_b32_e32 v40, 4, v0
	s_waitcnt lgkmcnt(0)
	; wave barrier
	s_waitcnt lgkmcnt(0)
	global_load_dwordx4 v[0:3], v40, s[8:9] offset:704
	global_load_dwordx4 v[4:7], v40, s[8:9] offset:720
	;; [unrolled: 1-line block ×10, first 2 shown]
	ds_read_b128 v[40:43], v66
	ds_read_b128 v[44:47], v64 offset:2304
	ds_read_b128 v[48:51], v64 offset:3072
	;; [unrolled: 1-line block ×8, first 2 shown]
	ds_read_b128 v[87:90], v65
	ds_read_b128 v[91:94], v64
	s_mov_b32 s22, 0xf8bb580b
	s_mov_b32 s6, 0x43842ef
	;; [unrolled: 1-line block ×26, first 2 shown]
	s_waitcnt lgkmcnt(0)
	; wave barrier
	s_waitcnt vmcnt(9) lgkmcnt(0)
	v_mul_f64 v[95:96], v[42:43], v[2:3]
	v_mul_f64 v[2:3], v[40:41], v[2:3]
	s_waitcnt vmcnt(8)
	v_mul_f64 v[97:98], v[89:90], v[6:7]
	v_mul_f64 v[6:7], v[87:88], v[6:7]
	s_waitcnt vmcnt(7)
	;; [unrolled: 3-line block ×6, first 2 shown]
	v_mul_f64 v[111:112], v[77:78], v[34:35]
	v_fma_f64 v[40:41], v[40:41], v[0:1], -v[95:96]
	v_fma_f64 v[0:1], v[42:43], v[0:1], v[2:3]
	v_mul_f64 v[2:3], v[75:76], v[34:35]
	s_waitcnt vmcnt(0)
	v_mul_f64 v[34:35], v[81:82], v[38:39]
	v_mul_f64 v[38:39], v[79:80], v[38:39]
	;; [unrolled: 1-line block ×6, first 2 shown]
	v_fma_f64 v[42:43], v[87:88], v[4:5], -v[97:98]
	v_fma_f64 v[87:88], v[89:90], v[4:5], v[6:7]
	v_fma_f64 v[44:45], v[44:45], v[8:9], -v[99:100]
	v_fma_f64 v[46:47], v[46:47], v[8:9], v[10:11]
	;; [unrolled: 2-line block ×3, first 2 shown]
	v_fma_f64 v[16:17], v[85:86], v[20:21], v[22:23]
	v_fma_f64 v[8:9], v[67:68], v[24:25], -v[107:108]
	v_fma_f64 v[10:11], v[69:70], v[24:25], v[26:27]
	v_fma_f64 v[24:25], v[77:78], v[32:33], v[2:3]
	;; [unrolled: 1-line block ×3, first 2 shown]
	v_fma_f64 v[26:27], v[79:80], v[36:37], -v[34:35]
	v_add_f64 v[36:37], v[91:92], v[40:41]
	v_fma_f64 v[48:49], v[48:49], v[12:13], -v[101:102]
	v_fma_f64 v[12:13], v[50:51], v[12:13], v[14:15]
	v_fma_f64 v[14:15], v[83:84], v[20:21], -v[105:106]
	v_fma_f64 v[18:19], v[71:72], v[28:29], -v[109:110]
	v_fma_f64 v[20:21], v[73:74], v[28:29], v[30:31]
	v_add_f64 v[28:29], v[0:1], -v[16:17]
	v_add_f64 v[34:35], v[0:1], v[16:17]
	v_add_f64 v[0:1], v[93:94], v[0:1]
	;; [unrolled: 1-line block ×3, first 2 shown]
	v_fma_f64 v[22:23], v[75:76], v[32:33], -v[111:112]
	v_add_f64 v[30:31], v[40:41], -v[14:15]
	v_add_f64 v[32:33], v[40:41], v[14:15]
	v_add_f64 v[38:39], v[87:88], -v[2:3]
	v_mul_f64 v[54:55], v[28:29], s[22:23]
	v_mul_f64 v[67:68], v[28:29], s[10:11]
	v_add_f64 v[0:1], v[0:1], v[87:88]
	v_add_f64 v[36:37], v[36:37], v[44:45]
	v_mul_f64 v[71:72], v[28:29], s[6:7]
	v_mul_f64 v[69:70], v[30:31], s[22:23]
	;; [unrolled: 1-line block ×6, first 2 shown]
	v_add_f64 v[0:1], v[0:1], v[46:47]
	v_add_f64 v[36:37], v[36:37], v[48:49]
	v_mul_f64 v[79:80], v[30:31], s[16:17]
	v_mul_f64 v[30:31], v[30:31], s[20:21]
	v_add_f64 v[40:41], v[87:88], v[2:3]
	v_fma_f64 v[87:88], v[32:33], s[14:15], -v[54:55]
	v_fma_f64 v[54:55], v[32:33], s[14:15], v[54:55]
	v_fma_f64 v[89:90], v[32:33], s[4:5], -v[67:68]
	v_add_f64 v[0:1], v[0:1], v[12:13]
	v_add_f64 v[36:37], v[36:37], v[4:5]
	v_fma_f64 v[67:68], v[32:33], s[4:5], v[67:68]
	v_fma_f64 v[95:96], v[32:33], s[0:1], -v[71:72]
	v_fma_f64 v[71:72], v[32:33], s[0:1], v[71:72]
	v_fma_f64 v[97:98], v[32:33], s[12:13], -v[75:76]
	;; [unrolled: 2-line block ×3, first 2 shown]
	v_fma_f64 v[28:29], v[32:33], s[18:19], v[28:29]
	v_fma_f64 v[32:33], v[34:35], s[14:15], v[69:70]
	v_fma_f64 v[69:70], v[34:35], s[14:15], -v[69:70]
	v_fma_f64 v[101:102], v[34:35], s[4:5], v[73:74]
	v_fma_f64 v[73:74], v[34:35], s[4:5], -v[73:74]
	v_add_f64 v[0:1], v[0:1], v[6:7]
	v_fma_f64 v[103:104], v[34:35], s[0:1], v[77:78]
	v_fma_f64 v[77:78], v[34:35], s[0:1], -v[77:78]
	v_fma_f64 v[105:106], v[34:35], s[12:13], v[79:80]
	v_fma_f64 v[79:80], v[34:35], s[12:13], -v[79:80]
	;; [unrolled: 2-line block ×3, first 2 shown]
	v_add_f64 v[34:35], v[36:37], v[8:9]
	v_add_f64 v[0:1], v[0:1], v[10:11]
	v_add_f64 v[52:53], v[42:43], -v[26:27]
	v_add_f64 v[50:51], v[42:43], v[26:27]
	v_mul_f64 v[42:43], v[38:39], s[10:11]
	v_mul_f64 v[83:84], v[38:39], s[16:17]
	v_add_f64 v[87:88], v[91:92], v[87:88]
	v_add_f64 v[54:55], v[91:92], v[54:55]
	;; [unrolled: 1-line block ×4, first 2 shown]
	v_mul_f64 v[81:82], v[52:53], s[10:11]
	v_mul_f64 v[85:86], v[52:53], s[16:17]
	v_fma_f64 v[36:37], v[50:51], s[4:5], -v[42:43]
	v_fma_f64 v[42:43], v[50:51], s[4:5], v[42:43]
	v_add_f64 v[69:70], v[93:94], v[69:70]
	v_add_f64 v[89:90], v[91:92], v[89:90]
	;; [unrolled: 1-line block ×4, first 2 shown]
	v_fma_f64 v[109:110], v[40:41], s[4:5], v[81:82]
	v_add_f64 v[67:68], v[91:92], v[67:68]
	v_add_f64 v[73:74], v[93:94], v[73:74]
	;; [unrolled: 1-line block ×4, first 2 shown]
	v_mul_f64 v[54:55], v[52:53], s[28:29]
	v_add_f64 v[26:27], v[34:35], v[26:27]
	v_add_f64 v[2:3], v[0:1], v[2:3]
	v_mul_f64 v[87:88], v[38:39], s[26:27]
	v_add_f64 v[95:96], v[91:92], v[95:96]
	v_add_f64 v[71:72], v[91:92], v[71:72]
	;; [unrolled: 1-line block ×6, first 2 shown]
	v_fma_f64 v[14:15], v[40:41], s[4:5], -v[81:82]
	v_add_f64 v[2:3], v[2:3], v[16:17]
	v_fma_f64 v[16:17], v[50:51], s[12:13], -v[83:84]
	v_mul_f64 v[81:82], v[38:39], s[28:29]
	v_add_f64 v[34:35], v[93:94], v[79:80]
	v_add_f64 v[79:80], v[91:92], v[99:100]
	;; [unrolled: 1-line block ×3, first 2 shown]
	v_fma_f64 v[26:27], v[40:41], s[12:13], v[85:86]
	v_add_f64 v[14:15], v[14:15], v[69:70]
	v_fma_f64 v[69:70], v[50:51], s[12:13], v[83:84]
	v_fma_f64 v[83:84], v[40:41], s[12:13], -v[85:86]
	v_add_f64 v[16:17], v[16:17], v[89:90]
	v_fma_f64 v[85:86], v[50:51], s[18:19], -v[81:82]
	v_mul_f64 v[89:90], v[52:53], s[26:27]
	v_fma_f64 v[91:92], v[40:41], s[18:19], v[54:55]
	v_fma_f64 v[54:55], v[40:41], s[18:19], -v[54:55]
	v_add_f64 v[105:106], v[93:94], v[105:106]
	v_add_f64 v[67:68], v[69:70], v[67:68]
	;; [unrolled: 1-line block ×3, first 2 shown]
	v_fma_f64 v[83:84], v[50:51], s[0:1], -v[87:88]
	v_add_f64 v[73:74], v[85:86], v[95:96]
	v_fma_f64 v[81:82], v[50:51], s[18:19], v[81:82]
	v_fma_f64 v[85:86], v[40:41], s[0:1], v[89:90]
	v_mul_f64 v[38:39], v[38:39], s[24:25]
	v_add_f64 v[54:55], v[54:55], v[77:78]
	v_add_f64 v[32:33], v[93:94], v[32:33]
	;; [unrolled: 1-line block ×4, first 2 shown]
	v_add_f64 v[83:84], v[46:47], -v[24:25]
	v_add_f64 v[103:104], v[93:94], v[103:104]
	v_add_f64 v[99:100], v[93:94], v[107:108]
	;; [unrolled: 1-line block ×5, first 2 shown]
	v_mul_f64 v[52:53], v[52:53], s[24:25]
	v_fma_f64 v[85:86], v[50:51], s[0:1], v[87:88]
	v_fma_f64 v[87:88], v[50:51], s[14:15], -v[38:39]
	v_add_f64 v[93:94], v[44:45], -v[22:23]
	v_fma_f64 v[38:39], v[50:51], s[14:15], v[38:39]
	v_fma_f64 v[50:51], v[40:41], s[0:1], -v[89:90]
	v_add_f64 v[22:23], v[44:45], v[22:23]
	v_mul_f64 v[44:45], v[83:84], s[6:7]
	v_fma_f64 v[89:90], v[40:41], s[14:15], v[52:53]
	v_fma_f64 v[40:41], v[40:41], s[14:15], -v[52:53]
	v_add_f64 v[24:25], v[46:47], v[24:25]
	v_mul_f64 v[46:47], v[93:94], s[6:7]
	v_add_f64 v[52:53], v[85:86], v[75:76]
	v_add_f64 v[34:35], v[50:51], v[34:35]
	;; [unrolled: 1-line block ×3, first 2 shown]
	v_fma_f64 v[75:76], v[22:23], s[0:1], -v[44:45]
	v_mul_f64 v[87:88], v[93:94], s[28:29]
	s_mov_b32 s11, 0x3fed1bb4
	v_add_f64 v[32:33], v[109:110], v[32:33]
	v_add_f64 v[26:27], v[26:27], v[101:102]
	;; [unrolled: 1-line block ×3, first 2 shown]
	v_mul_f64 v[85:86], v[83:84], s[28:29]
	v_fma_f64 v[89:90], v[24:25], s[0:1], v[46:47]
	v_add_f64 v[28:29], v[38:39], v[28:29]
	v_add_f64 v[30:31], v[40:41], v[30:31]
	v_fma_f64 v[38:39], v[22:23], s[0:1], v[44:45]
	v_add_f64 v[36:37], v[75:76], v[36:37]
	v_fma_f64 v[40:41], v[24:25], s[0:1], -v[46:47]
	v_fma_f64 v[46:47], v[24:25], s[18:19], v[87:88]
	v_mul_f64 v[75:76], v[83:84], s[10:11]
	v_fma_f64 v[44:45], v[22:23], s[18:19], -v[85:86]
	v_add_f64 v[32:33], v[89:90], v[32:33]
	v_mul_f64 v[89:90], v[93:94], s[22:23]
	v_add_f64 v[38:39], v[38:39], v[42:43]
	v_mul_f64 v[42:43], v[93:94], s[10:11]
	v_add_f64 v[14:15], v[40:41], v[14:15]
	v_add_f64 v[26:27], v[46:47], v[26:27]
	v_fma_f64 v[40:41], v[22:23], s[18:19], v[85:86]
	v_fma_f64 v[46:47], v[22:23], s[4:5], -v[75:76]
	v_mul_f64 v[85:86], v[83:84], s[22:23]
	v_add_f64 v[16:17], v[44:45], v[16:17]
	v_fma_f64 v[44:45], v[24:25], s[18:19], -v[87:88]
	v_fma_f64 v[87:88], v[24:25], s[4:5], v[42:43]
	v_fma_f64 v[75:76], v[22:23], s[4:5], v[75:76]
	v_fma_f64 v[42:43], v[24:25], s[4:5], -v[42:43]
	v_add_f64 v[40:41], v[40:41], v[67:68]
	v_add_f64 v[46:47], v[46:47], v[73:74]
	v_fma_f64 v[67:68], v[22:23], s[14:15], -v[85:86]
	v_fma_f64 v[73:74], v[24:25], s[14:15], v[89:90]
	v_add_f64 v[91:92], v[91:92], v[103:104]
	v_add_f64 v[44:45], v[44:45], v[69:70]
	;; [unrolled: 1-line block ×4, first 2 shown]
	v_fma_f64 v[54:55], v[22:23], s[14:15], v[85:86]
	v_mul_f64 v[75:76], v[83:84], s[16:17]
	v_mul_f64 v[83:84], v[93:94], s[16:17]
	v_add_f64 v[67:68], v[67:68], v[77:78]
	v_add_f64 v[77:78], v[12:13], -v[20:21]
	v_add_f64 v[73:74], v[73:74], v[81:82]
	v_add_f64 v[81:82], v[48:49], -v[18:19]
	v_add_f64 v[69:70], v[87:88], v[91:92]
	v_fma_f64 v[85:86], v[24:25], s[14:15], -v[89:90]
	v_add_f64 v[52:53], v[54:55], v[52:53]
	v_fma_f64 v[54:55], v[22:23], s[12:13], -v[75:76]
	v_fma_f64 v[87:88], v[24:25], s[12:13], v[83:84]
	v_add_f64 v[18:19], v[48:49], v[18:19]
	v_mul_f64 v[48:49], v[77:78], s[16:17]
	v_add_f64 v[12:13], v[12:13], v[20:21]
	v_mul_f64 v[20:21], v[81:82], s[16:17]
	v_add_f64 v[34:35], v[85:86], v[34:35]
	v_fma_f64 v[22:23], v[22:23], s[12:13], v[75:76]
	v_add_f64 v[50:51], v[54:55], v[50:51]
	v_add_f64 v[54:55], v[87:88], v[79:80]
	v_fma_f64 v[24:25], v[24:25], s[12:13], -v[83:84]
	v_fma_f64 v[75:76], v[18:19], s[12:13], -v[48:49]
	v_mul_f64 v[79:80], v[77:78], s[26:27]
	v_fma_f64 v[83:84], v[12:13], s[12:13], v[20:21]
	v_fma_f64 v[48:49], v[18:19], s[12:13], v[48:49]
	v_fma_f64 v[20:21], v[12:13], s[12:13], -v[20:21]
	v_mul_f64 v[85:86], v[81:82], s[26:27]
	v_add_f64 v[22:23], v[22:23], v[28:29]
	v_add_f64 v[24:25], v[24:25], v[30:31]
	;; [unrolled: 1-line block ×3, first 2 shown]
	v_fma_f64 v[30:31], v[18:19], s[0:1], -v[79:80]
	v_add_f64 v[32:33], v[83:84], v[32:33]
	v_add_f64 v[36:37], v[48:49], v[38:39]
	;; [unrolled: 1-line block ×3, first 2 shown]
	v_fma_f64 v[20:21], v[12:13], s[0:1], v[85:86]
	v_mul_f64 v[38:39], v[77:78], s[22:23]
	v_mul_f64 v[48:49], v[81:82], s[22:23]
	v_fma_f64 v[75:76], v[18:19], s[0:1], v[79:80]
	v_add_f64 v[16:17], v[30:31], v[16:17]
	v_mul_f64 v[30:31], v[77:78], s[20:21]
	v_mul_f64 v[79:80], v[81:82], s[20:21]
	v_fma_f64 v[83:84], v[12:13], s[0:1], -v[85:86]
	v_add_f64 v[20:21], v[20:21], v[26:27]
	v_fma_f64 v[26:27], v[18:19], s[14:15], -v[38:39]
	v_fma_f64 v[85:86], v[12:13], s[14:15], v[48:49]
	v_fma_f64 v[38:39], v[18:19], s[14:15], v[38:39]
	v_fma_f64 v[48:49], v[12:13], s[14:15], -v[48:49]
	v_fma_f64 v[87:88], v[18:19], s[18:19], -v[30:31]
	v_fma_f64 v[89:90], v[12:13], s[18:19], v[79:80]
	v_add_f64 v[40:41], v[75:76], v[40:41]
	v_mul_f64 v[75:76], v[81:82], s[10:11]
	v_add_f64 v[26:27], v[26:27], v[46:47]
	v_add_f64 v[46:47], v[85:86], v[69:70]
	v_add_f64 v[69:70], v[6:7], -v[10:11]
	v_add_f64 v[38:39], v[38:39], v[71:72]
	v_add_f64 v[71:72], v[4:5], -v[8:9]
	v_add_f64 v[42:43], v[48:49], v[42:43]
	v_add_f64 v[48:49], v[87:88], v[67:68]
	;; [unrolled: 1-line block ×3, first 2 shown]
	v_mul_f64 v[73:74], v[77:78], s[10:11]
	v_fma_f64 v[30:31], v[18:19], s[18:19], v[30:31]
	v_fma_f64 v[77:78], v[12:13], s[18:19], -v[79:80]
	v_add_f64 v[79:80], v[4:5], v[8:9]
	v_mul_f64 v[8:9], v[69:70], s[20:21]
	v_add_f64 v[81:82], v[6:7], v[10:11]
	v_mul_f64 v[10:11], v[71:72], s[20:21]
	v_fma_f64 v[6:7], v[12:13], s[4:5], v[75:76]
	v_fma_f64 v[12:13], v[12:13], s[4:5], -v[75:76]
	v_fma_f64 v[4:5], v[18:19], s[4:5], -v[73:74]
	v_add_f64 v[52:53], v[30:31], v[52:53]
	v_add_f64 v[34:35], v[77:78], v[34:35]
	v_fma_f64 v[18:19], v[18:19], s[4:5], v[73:74]
	v_fma_f64 v[30:31], v[79:80], s[18:19], -v[8:9]
	v_mul_f64 v[75:76], v[69:70], s[24:25]
	v_mul_f64 v[77:78], v[71:72], s[24:25]
	v_fma_f64 v[73:74], v[81:82], s[18:19], v[10:11]
	v_add_f64 v[85:86], v[12:13], v[24:25]
	v_mul_f64 v[24:25], v[71:72], s[16:17]
	v_add_f64 v[44:45], v[83:84], v[44:45]
	v_add_f64 v[50:51], v[4:5], v[50:51]
	;; [unrolled: 1-line block ×4, first 2 shown]
	v_fma_f64 v[8:9], v[79:80], s[18:19], v[8:9]
	v_fma_f64 v[10:11], v[81:82], s[18:19], -v[10:11]
	v_fma_f64 v[12:13], v[79:80], s[14:15], -v[75:76]
	v_fma_f64 v[18:19], v[81:82], s[14:15], v[77:78]
	v_mul_f64 v[22:23], v[69:70], s[16:17]
	v_fma_f64 v[28:29], v[79:80], s[14:15], v[75:76]
	v_fma_f64 v[30:31], v[81:82], s[14:15], -v[77:78]
	v_add_f64 v[54:55], v[6:7], v[54:55]
	v_add_f64 v[6:7], v[73:74], v[32:33]
	v_fma_f64 v[32:33], v[81:82], s[12:13], v[24:25]
	v_add_f64 v[8:9], v[8:9], v[36:37]
	v_add_f64 v[10:11], v[10:11], v[14:15]
	;; [unrolled: 1-line block ×4, first 2 shown]
	v_fma_f64 v[20:21], v[79:80], s[12:13], -v[22:23]
	v_add_f64 v[16:17], v[28:29], v[40:41]
	v_add_f64 v[18:19], v[30:31], v[44:45]
	v_fma_f64 v[28:29], v[79:80], s[12:13], v[22:23]
	v_fma_f64 v[30:31], v[81:82], s[12:13], -v[24:25]
	v_mul_f64 v[36:37], v[69:70], s[10:11]
	v_mul_f64 v[40:41], v[71:72], s[10:11]
	v_add_f64 v[22:23], v[32:33], v[46:47]
	v_mul_f64 v[32:33], v[69:70], s[6:7]
	v_mul_f64 v[44:45], v[71:72], s[6:7]
	v_add_f64 v[20:21], v[20:21], v[26:27]
	v_add_f64 v[24:25], v[28:29], v[38:39]
	;; [unrolled: 1-line block ×3, first 2 shown]
	v_fma_f64 v[28:29], v[79:80], s[4:5], -v[36:37]
	v_fma_f64 v[30:31], v[81:82], s[4:5], v[40:41]
	v_fma_f64 v[36:37], v[79:80], s[4:5], v[36:37]
	v_fma_f64 v[38:39], v[81:82], s[4:5], -v[40:41]
	v_fma_f64 v[40:41], v[79:80], s[0:1], -v[32:33]
	v_fma_f64 v[42:43], v[81:82], s[0:1], v[44:45]
	v_fma_f64 v[46:47], v[79:80], s[0:1], v[32:33]
	v_fma_f64 v[44:45], v[81:82], s[0:1], -v[44:45]
	v_add_f64 v[28:29], v[28:29], v[48:49]
	v_add_f64 v[30:31], v[30:31], v[67:68]
	;; [unrolled: 1-line block ×8, first 2 shown]
	ds_write_b128 v64, v[0:3]
	ds_write_b128 v64, v[4:7] offset:768
	ds_write_b128 v64, v[12:15] offset:1536
	;; [unrolled: 1-line block ×10, first 2 shown]
	s_waitcnt lgkmcnt(0)
	; wave barrier
	s_waitcnt lgkmcnt(0)
	ds_read_b128 v[0:3], v64
	s_add_u32 s6, s8, 0x20c0
	v_lshlrev_b32_e32 v4, 4, v56
	s_addc_u32 s7, s9, 0
	v_sub_u32_e32 v10, 0, v4
	v_cmp_ne_u32_e64 s[0:1], 0, v56
                                        ; implicit-def: $vgpr8_vgpr9
                                        ; implicit-def: $vgpr6_vgpr7
                                        ; implicit-def: $vgpr4_vgpr5
	s_and_saveexec_b64 s[4:5], s[0:1]
	s_xor_b64 s[4:5], exec, s[4:5]
	s_cbranch_execz .LBB0_25
; %bb.24:
	v_mov_b32_e32 v57, 0
	v_lshlrev_b64 v[4:5], 4, v[56:57]
	v_mov_b32_e32 v6, s7
	v_add_co_u32_e64 v4, s[0:1], s6, v4
	v_addc_co_u32_e64 v5, s[0:1], v6, v5, s[0:1]
	global_load_dwordx4 v[4:7], v[4:5], off
	ds_read_b128 v[11:14], v10 offset:8448
	s_waitcnt lgkmcnt(0)
	v_add_f64 v[8:9], v[0:1], -v[11:12]
	v_add_f64 v[15:16], v[2:3], v[13:14]
	v_add_f64 v[2:3], v[2:3], -v[13:14]
	v_add_f64 v[0:1], v[0:1], v[11:12]
	v_mul_f64 v[8:9], v[8:9], 0.5
	v_mul_f64 v[13:14], v[15:16], 0.5
	;; [unrolled: 1-line block ×3, first 2 shown]
	s_waitcnt vmcnt(0)
	v_mul_f64 v[11:12], v[8:9], v[6:7]
	v_fma_f64 v[15:16], v[13:14], v[6:7], v[2:3]
	v_fma_f64 v[2:3], v[13:14], v[6:7], -v[2:3]
	v_fma_f64 v[6:7], v[0:1], 0.5, v[11:12]
	v_fma_f64 v[0:1], v[0:1], 0.5, -v[11:12]
	v_fma_f64 v[11:12], -v[4:5], v[8:9], v[15:16]
	v_fma_f64 v[2:3], -v[4:5], v[8:9], v[2:3]
	ds_write_b64 v64, v[11:12] offset:8
	ds_write_b64 v10, v[2:3] offset:8456
	v_fma_f64 v[6:7], v[13:14], v[4:5], v[6:7]
	v_fma_f64 v[8:9], -v[13:14], v[4:5], v[0:1]
	v_mov_b32_e32 v4, v56
	v_mov_b32_e32 v5, v57
                                        ; implicit-def: $vgpr0_vgpr1
.LBB0_25:
	s_andn2_saveexec_b64 s[0:1], s[4:5]
	s_cbranch_execz .LBB0_27
; %bb.26:
	s_mov_b32 s4, 0
	s_mov_b32 s5, s4
	v_mov_b32_e32 v4, s4
	s_waitcnt lgkmcnt(0)
	v_add_f64 v[6:7], v[0:1], v[2:3]
	v_mov_b32_e32 v5, s5
	v_add_f64 v[8:9], v[0:1], -v[2:3]
	ds_write_b64 v64, v[4:5] offset:8
	ds_write_b64 v10, v[4:5] offset:8456
	v_mov_b32_e32 v2, 0
	ds_read_b64 v[0:1], v2 offset:4232
	v_mov_b32_e32 v4, 0
	v_mov_b32_e32 v5, 0
	s_waitcnt lgkmcnt(0)
	v_xor_b32_e32 v1, 0x80000000, v1
	ds_write_b64 v2, v[0:1] offset:4232
.LBB0_27:
	s_or_b64 exec, exec, s[0:1]
	v_mov_b32_e32 v61, 0
	s_waitcnt lgkmcnt(0)
	v_lshlrev_b64 v[0:1], 4, v[60:61]
	v_mov_b32_e32 v2, s7
	v_add_co_u32_e64 v0, s[0:1], s6, v0
	v_addc_co_u32_e64 v1, s[0:1], v2, v1, s[0:1]
	global_load_dwordx4 v[11:14], v[0:1], off
	v_mov_b32_e32 v63, v61
	v_lshlrev_b64 v[0:1], 4, v[62:63]
	v_mov_b32_e32 v27, s7
	v_add_co_u32_e64 v0, s[0:1], s6, v0
	v_addc_co_u32_e64 v1, s[0:1], v2, v1, s[0:1]
	global_load_dwordx4 v[15:18], v[0:1], off
	ds_write_b64 v64, v[6:7]
	ds_write_b64 v10, v[8:9] offset:8448
	ds_read_b128 v[0:3], v66
	ds_read_b128 v[6:9], v10 offset:7680
	s_waitcnt lgkmcnt(0)
	v_add_f64 v[19:20], v[0:1], -v[6:7]
	v_add_f64 v[21:22], v[2:3], v[8:9]
	v_add_f64 v[2:3], v[2:3], -v[8:9]
	v_add_f64 v[6:7], v[0:1], v[6:7]
	v_lshlrev_b64 v[0:1], 4, v[4:5]
	v_mul_f64 v[8:9], v[19:20], 0.5
	v_mul_f64 v[23:24], v[21:22], 0.5
	;; [unrolled: 1-line block ×3, first 2 shown]
	s_waitcnt vmcnt(1)
	v_mul_f64 v[19:20], v[8:9], v[13:14]
	v_fma_f64 v[4:5], v[23:24], v[13:14], v[2:3]
	v_fma_f64 v[13:14], v[23:24], v[13:14], -v[2:3]
	v_add_co_u32_e64 v2, s[0:1], s6, v0
	v_addc_co_u32_e64 v3, s[0:1], v27, v1, s[0:1]
	v_cmp_gt_u32_e64 s[0:1], 24, v56
	v_fma_f64 v[21:22], v[6:7], 0.5, v[19:20]
	v_fma_f64 v[25:26], v[6:7], 0.5, -v[19:20]
	v_fma_f64 v[6:7], -v[11:12], v[8:9], v[4:5]
	v_fma_f64 v[13:14], -v[11:12], v[8:9], v[13:14]
	v_fma_f64 v[4:5], v[23:24], v[11:12], v[21:22]
	global_load_dwordx4 v[19:22], v[2:3], off offset:2304
	v_fma_f64 v[11:12], -v[23:24], v[11:12], v[25:26]
	ds_write_b128 v66, v[4:7]
	ds_write_b128 v10, v[11:14] offset:7680
	ds_read_b128 v[4:7], v65
	ds_read_b128 v[11:14], v10 offset:6912
	s_waitcnt lgkmcnt(0)
	v_add_f64 v[8:9], v[4:5], -v[11:12]
	v_add_f64 v[23:24], v[6:7], v[13:14]
	v_add_f64 v[6:7], v[6:7], -v[13:14]
	v_add_f64 v[4:5], v[4:5], v[11:12]
	v_mul_f64 v[8:9], v[8:9], 0.5
	v_mul_f64 v[23:24], v[23:24], 0.5
	;; [unrolled: 1-line block ×3, first 2 shown]
	s_waitcnt vmcnt(1)
	v_mul_f64 v[11:12], v[8:9], v[17:18]
	v_fma_f64 v[13:14], v[23:24], v[17:18], v[6:7]
	v_fma_f64 v[17:18], v[23:24], v[17:18], -v[6:7]
	v_fma_f64 v[25:26], v[4:5], 0.5, v[11:12]
	v_fma_f64 v[27:28], v[4:5], 0.5, -v[11:12]
	global_load_dwordx4 v[4:7], v[2:3], off offset:3072
	v_fma_f64 v[13:14], -v[15:16], v[8:9], v[13:14]
	v_fma_f64 v[17:18], -v[15:16], v[8:9], v[17:18]
	v_fma_f64 v[11:12], v[23:24], v[15:16], v[25:26]
	v_fma_f64 v[15:16], -v[23:24], v[15:16], v[27:28]
	ds_write_b128 v65, v[11:14]
	ds_write_b128 v10, v[15:18] offset:6912
	ds_read_b128 v[11:14], v64 offset:2304
	ds_read_b128 v[15:18], v10 offset:6144
	s_waitcnt lgkmcnt(0)
	v_add_f64 v[8:9], v[11:12], -v[15:16]
	v_add_f64 v[23:24], v[13:14], v[17:18]
	v_add_f64 v[13:14], v[13:14], -v[17:18]
	v_add_f64 v[11:12], v[11:12], v[15:16]
	v_mul_f64 v[8:9], v[8:9], 0.5
	v_mul_f64 v[23:24], v[23:24], 0.5
	;; [unrolled: 1-line block ×3, first 2 shown]
	s_waitcnt vmcnt(1)
	v_mul_f64 v[15:16], v[8:9], v[21:22]
	v_fma_f64 v[17:18], v[23:24], v[21:22], v[13:14]
	v_fma_f64 v[21:22], v[23:24], v[21:22], -v[13:14]
	v_fma_f64 v[25:26], v[11:12], 0.5, v[15:16]
	v_fma_f64 v[15:16], v[11:12], 0.5, -v[15:16]
	v_fma_f64 v[13:14], -v[19:20], v[8:9], v[17:18]
	v_fma_f64 v[17:18], -v[19:20], v[8:9], v[21:22]
	v_fma_f64 v[11:12], v[23:24], v[19:20], v[25:26]
	v_fma_f64 v[15:16], -v[23:24], v[19:20], v[15:16]
	ds_write_b128 v64, v[11:14] offset:2304
	ds_write_b128 v10, v[15:18] offset:6144
	ds_read_b128 v[11:14], v64 offset:3072
	ds_read_b128 v[15:18], v10 offset:5376
	s_waitcnt lgkmcnt(0)
	v_add_f64 v[8:9], v[11:12], -v[15:16]
	v_add_f64 v[19:20], v[13:14], v[17:18]
	v_add_f64 v[13:14], v[13:14], -v[17:18]
	v_add_f64 v[11:12], v[11:12], v[15:16]
	v_mul_f64 v[17:18], v[8:9], 0.5
	v_mul_f64 v[19:20], v[19:20], 0.5
	;; [unrolled: 1-line block ×3, first 2 shown]
	s_waitcnt vmcnt(0)
	v_mul_f64 v[13:14], v[17:18], v[6:7]
	v_fma_f64 v[15:16], v[19:20], v[6:7], v[8:9]
	v_fma_f64 v[6:7], v[19:20], v[6:7], -v[8:9]
	v_fma_f64 v[21:22], v[11:12], 0.5, v[13:14]
	v_fma_f64 v[11:12], v[11:12], 0.5, -v[13:14]
	v_fma_f64 v[8:9], -v[4:5], v[17:18], v[15:16]
	v_fma_f64 v[13:14], -v[4:5], v[17:18], v[6:7]
	v_fma_f64 v[6:7], v[19:20], v[4:5], v[21:22]
	v_fma_f64 v[11:12], -v[19:20], v[4:5], v[11:12]
	ds_write_b128 v64, v[6:9] offset:3072
	ds_write_b128 v10, v[11:14] offset:5376
	s_and_saveexec_b64 s[4:5], s[0:1]
	s_cbranch_execz .LBB0_29
; %bb.28:
	global_load_dwordx4 v[2:5], v[2:3], off offset:3840
	ds_read_b128 v[6:9], v64 offset:3840
	ds_read_b128 v[11:14], v10 offset:4608
	s_waitcnt lgkmcnt(0)
	v_add_f64 v[15:16], v[6:7], -v[11:12]
	v_add_f64 v[17:18], v[8:9], v[13:14]
	v_add_f64 v[8:9], v[8:9], -v[13:14]
	v_add_f64 v[6:7], v[6:7], v[11:12]
	v_mul_f64 v[13:14], v[15:16], 0.5
	v_mul_f64 v[15:16], v[17:18], 0.5
	;; [unrolled: 1-line block ×3, first 2 shown]
	s_waitcnt vmcnt(0)
	v_mul_f64 v[11:12], v[13:14], v[4:5]
	v_fma_f64 v[17:18], v[15:16], v[4:5], v[8:9]
	v_fma_f64 v[4:5], v[15:16], v[4:5], -v[8:9]
	v_fma_f64 v[8:9], v[6:7], 0.5, v[11:12]
	v_fma_f64 v[11:12], v[6:7], 0.5, -v[11:12]
	v_fma_f64 v[6:7], -v[2:3], v[13:14], v[17:18]
	v_fma_f64 v[13:14], -v[2:3], v[13:14], v[4:5]
	v_fma_f64 v[4:5], v[15:16], v[2:3], v[8:9]
	v_fma_f64 v[11:12], -v[15:16], v[2:3], v[11:12]
	ds_write_b128 v64, v[4:7] offset:3840
	ds_write_b128 v10, v[11:14] offset:4608
.LBB0_29:
	s_or_b64 exec, exec, s[4:5]
	s_waitcnt lgkmcnt(0)
	; wave barrier
	s_waitcnt lgkmcnt(0)
	s_and_saveexec_b64 s[0:1], vcc
	s_cbranch_execz .LBB0_32
; %bb.30:
	ds_read_b128 v[4:7], v64
	ds_read_b128 v[8:11], v64 offset:768
	v_mov_b32_e32 v2, s3
	v_add_co_u32_e32 v3, vcc, s2, v58
	v_addc_co_u32_e32 v2, vcc, v2, v59, vcc
	v_add_co_u32_e32 v0, vcc, v3, v0
	v_addc_co_u32_e32 v1, vcc, v2, v1, vcc
	s_waitcnt lgkmcnt(1)
	global_store_dwordx4 v[0:1], v[4:7], off
	ds_read_b128 v[4:7], v64 offset:1536
	ds_read_b128 v[12:15], v64 offset:2304
	ds_read_b128 v[16:19], v64 offset:3072
	ds_read_b128 v[20:23], v64 offset:3840
	s_waitcnt lgkmcnt(4)
	global_store_dwordx4 v[0:1], v[8:11], off offset:768
	s_waitcnt lgkmcnt(3)
	global_store_dwordx4 v[0:1], v[4:7], off offset:1536
	;; [unrolled: 2-line block ×5, first 2 shown]
	ds_read_b128 v[4:7], v64 offset:4608
	ds_read_b128 v[8:11], v64 offset:5376
	s_movk_i32 s0, 0x1000
	v_add_co_u32_e32 v16, vcc, s0, v0
	v_addc_co_u32_e32 v17, vcc, 0, v1, vcc
	s_waitcnt lgkmcnt(1)
	global_store_dwordx4 v[16:17], v[4:7], off offset:512
	s_waitcnt lgkmcnt(0)
	global_store_dwordx4 v[16:17], v[8:11], off offset:1280
	v_or_b32_e32 v0, 0x180, v56
	v_mov_b32_e32 v1, 0
	v_lshlrev_b64 v[18:19], 4, v[0:1]
	ds_read_b128 v[4:7], v64 offset:6144
	ds_read_b128 v[8:11], v64 offset:6912
	;; [unrolled: 1-line block ×3, first 2 shown]
	v_add_co_u32_e32 v18, vcc, v3, v18
	v_addc_co_u32_e32 v19, vcc, v2, v19, vcc
	v_cmp_eq_u32_e32 vcc, 47, v56
	s_waitcnt lgkmcnt(2)
	global_store_dwordx4 v[18:19], v[4:7], off
	s_waitcnt lgkmcnt(1)
	global_store_dwordx4 v[16:17], v[8:11], off offset:2816
	s_waitcnt lgkmcnt(0)
	global_store_dwordx4 v[16:17], v[12:15], off offset:3584
	s_and_b64 exec, exec, vcc
	s_cbranch_execz .LBB0_32
; %bb.31:
	ds_read_b128 v[4:7], v1 offset:8448
	v_add_co_u32_e32 v0, vcc, 0x2000, v3
	v_addc_co_u32_e32 v1, vcc, 0, v2, vcc
	s_waitcnt lgkmcnt(0)
	global_store_dwordx4 v[0:1], v[4:7], off offset:256
.LBB0_32:
	s_endpgm
	.section	.rodata,"a",@progbits
	.p2align	6, 0x0
	.amdhsa_kernel fft_rtc_fwd_len528_factors_4_4_3_11_wgs_48_tpt_48_halfLds_dp_ip_CI_unitstride_sbrr_R2C_dirReg
		.amdhsa_group_segment_fixed_size 0
		.amdhsa_private_segment_fixed_size 0
		.amdhsa_kernarg_size 88
		.amdhsa_user_sgpr_count 6
		.amdhsa_user_sgpr_private_segment_buffer 1
		.amdhsa_user_sgpr_dispatch_ptr 0
		.amdhsa_user_sgpr_queue_ptr 0
		.amdhsa_user_sgpr_kernarg_segment_ptr 1
		.amdhsa_user_sgpr_dispatch_id 0
		.amdhsa_user_sgpr_flat_scratch_init 0
		.amdhsa_user_sgpr_private_segment_size 0
		.amdhsa_uses_dynamic_stack 0
		.amdhsa_system_sgpr_private_segment_wavefront_offset 0
		.amdhsa_system_sgpr_workgroup_id_x 1
		.amdhsa_system_sgpr_workgroup_id_y 0
		.amdhsa_system_sgpr_workgroup_id_z 0
		.amdhsa_system_sgpr_workgroup_info 0
		.amdhsa_system_vgpr_workitem_id 0
		.amdhsa_next_free_vgpr 113
		.amdhsa_next_free_sgpr 30
		.amdhsa_reserve_vcc 1
		.amdhsa_reserve_flat_scratch 0
		.amdhsa_float_round_mode_32 0
		.amdhsa_float_round_mode_16_64 0
		.amdhsa_float_denorm_mode_32 3
		.amdhsa_float_denorm_mode_16_64 3
		.amdhsa_dx10_clamp 1
		.amdhsa_ieee_mode 1
		.amdhsa_fp16_overflow 0
		.amdhsa_exception_fp_ieee_invalid_op 0
		.amdhsa_exception_fp_denorm_src 0
		.amdhsa_exception_fp_ieee_div_zero 0
		.amdhsa_exception_fp_ieee_overflow 0
		.amdhsa_exception_fp_ieee_underflow 0
		.amdhsa_exception_fp_ieee_inexact 0
		.amdhsa_exception_int_div_zero 0
	.end_amdhsa_kernel
	.text
.Lfunc_end0:
	.size	fft_rtc_fwd_len528_factors_4_4_3_11_wgs_48_tpt_48_halfLds_dp_ip_CI_unitstride_sbrr_R2C_dirReg, .Lfunc_end0-fft_rtc_fwd_len528_factors_4_4_3_11_wgs_48_tpt_48_halfLds_dp_ip_CI_unitstride_sbrr_R2C_dirReg
                                        ; -- End function
	.section	.AMDGPU.csdata,"",@progbits
; Kernel info:
; codeLenInByte = 9164
; NumSgprs: 34
; NumVgprs: 113
; ScratchSize: 0
; MemoryBound: 0
; FloatMode: 240
; IeeeMode: 1
; LDSByteSize: 0 bytes/workgroup (compile time only)
; SGPRBlocks: 4
; VGPRBlocks: 28
; NumSGPRsForWavesPerEU: 34
; NumVGPRsForWavesPerEU: 113
; Occupancy: 2
; WaveLimiterHint : 1
; COMPUTE_PGM_RSRC2:SCRATCH_EN: 0
; COMPUTE_PGM_RSRC2:USER_SGPR: 6
; COMPUTE_PGM_RSRC2:TRAP_HANDLER: 0
; COMPUTE_PGM_RSRC2:TGID_X_EN: 1
; COMPUTE_PGM_RSRC2:TGID_Y_EN: 0
; COMPUTE_PGM_RSRC2:TGID_Z_EN: 0
; COMPUTE_PGM_RSRC2:TIDIG_COMP_CNT: 0
	.type	__hip_cuid_d37e90407e271dee,@object ; @__hip_cuid_d37e90407e271dee
	.section	.bss,"aw",@nobits
	.globl	__hip_cuid_d37e90407e271dee
__hip_cuid_d37e90407e271dee:
	.byte	0                               ; 0x0
	.size	__hip_cuid_d37e90407e271dee, 1

	.ident	"AMD clang version 19.0.0git (https://github.com/RadeonOpenCompute/llvm-project roc-6.4.0 25133 c7fe45cf4b819c5991fe208aaa96edf142730f1d)"
	.section	".note.GNU-stack","",@progbits
	.addrsig
	.addrsig_sym __hip_cuid_d37e90407e271dee
	.amdgpu_metadata
---
amdhsa.kernels:
  - .args:
      - .actual_access:  read_only
        .address_space:  global
        .offset:         0
        .size:           8
        .value_kind:     global_buffer
      - .offset:         8
        .size:           8
        .value_kind:     by_value
      - .actual_access:  read_only
        .address_space:  global
        .offset:         16
        .size:           8
        .value_kind:     global_buffer
      - .actual_access:  read_only
        .address_space:  global
        .offset:         24
        .size:           8
        .value_kind:     global_buffer
      - .offset:         32
        .size:           8
        .value_kind:     by_value
      - .actual_access:  read_only
        .address_space:  global
        .offset:         40
        .size:           8
        .value_kind:     global_buffer
      - .actual_access:  read_only
        .address_space:  global
        .offset:         48
        .size:           8
        .value_kind:     global_buffer
      - .offset:         56
        .size:           4
        .value_kind:     by_value
      - .actual_access:  read_only
        .address_space:  global
        .offset:         64
        .size:           8
        .value_kind:     global_buffer
      - .actual_access:  read_only
        .address_space:  global
        .offset:         72
        .size:           8
        .value_kind:     global_buffer
      - .address_space:  global
        .offset:         80
        .size:           8
        .value_kind:     global_buffer
    .group_segment_fixed_size: 0
    .kernarg_segment_align: 8
    .kernarg_segment_size: 88
    .language:       OpenCL C
    .language_version:
      - 2
      - 0
    .max_flat_workgroup_size: 48
    .name:           fft_rtc_fwd_len528_factors_4_4_3_11_wgs_48_tpt_48_halfLds_dp_ip_CI_unitstride_sbrr_R2C_dirReg
    .private_segment_fixed_size: 0
    .sgpr_count:     34
    .sgpr_spill_count: 0
    .symbol:         fft_rtc_fwd_len528_factors_4_4_3_11_wgs_48_tpt_48_halfLds_dp_ip_CI_unitstride_sbrr_R2C_dirReg.kd
    .uniform_work_group_size: 1
    .uses_dynamic_stack: false
    .vgpr_count:     113
    .vgpr_spill_count: 0
    .wavefront_size: 64
amdhsa.target:   amdgcn-amd-amdhsa--gfx906
amdhsa.version:
  - 1
  - 2
...

	.end_amdgpu_metadata
